;; amdgpu-corpus repo=ROCm/rocFFT kind=compiled arch=gfx1030 opt=O3
	.text
	.amdgcn_target "amdgcn-amd-amdhsa--gfx1030"
	.amdhsa_code_object_version 6
	.protected	fft_rtc_fwd_len640_factors_8_10_8_wgs_128_tpt_64_halfLds_sp_ip_CI_unitstride_sbrr_C2R_dirReg ; -- Begin function fft_rtc_fwd_len640_factors_8_10_8_wgs_128_tpt_64_halfLds_sp_ip_CI_unitstride_sbrr_C2R_dirReg
	.globl	fft_rtc_fwd_len640_factors_8_10_8_wgs_128_tpt_64_halfLds_sp_ip_CI_unitstride_sbrr_C2R_dirReg
	.p2align	8
	.type	fft_rtc_fwd_len640_factors_8_10_8_wgs_128_tpt_64_halfLds_sp_ip_CI_unitstride_sbrr_C2R_dirReg,@function
fft_rtc_fwd_len640_factors_8_10_8_wgs_128_tpt_64_halfLds_sp_ip_CI_unitstride_sbrr_C2R_dirReg: ; @fft_rtc_fwd_len640_factors_8_10_8_wgs_128_tpt_64_halfLds_sp_ip_CI_unitstride_sbrr_C2R_dirReg
; %bb.0:
	s_clause 0x2
	s_load_dwordx4 s[8:11], s[4:5], 0x0
	s_load_dwordx2 s[2:3], s[4:5], 0x50
	s_load_dwordx2 s[12:13], s[4:5], 0x18
	v_lshrrev_b32_e32 v1, 6, v0
	v_mov_b32_e32 v3, 0
	v_lshl_or_b32 v5, s6, 1, v1
	v_mov_b32_e32 v1, 0
	v_mov_b32_e32 v6, v3
	v_mov_b32_e32 v2, 0
	s_waitcnt lgkmcnt(0)
	v_cmp_lt_u64_e64 s0, s[10:11], 2
	s_and_b32 vcc_lo, exec_lo, s0
	s_cbranch_vccnz .LBB0_8
; %bb.1:
	s_load_dwordx2 s[0:1], s[4:5], 0x10
	v_mov_b32_e32 v1, 0
	s_add_u32 s6, s12, 8
	v_mov_b32_e32 v2, 0
	s_addc_u32 s7, s13, 0
	s_mov_b64 s[16:17], 1
	s_waitcnt lgkmcnt(0)
	s_add_u32 s14, s0, 8
	s_addc_u32 s15, s1, 0
.LBB0_2:                                ; =>This Inner Loop Header: Depth=1
	s_load_dwordx2 s[18:19], s[14:15], 0x0
                                        ; implicit-def: $vgpr7_vgpr8
	s_mov_b32 s0, exec_lo
	s_waitcnt lgkmcnt(0)
	v_or_b32_e32 v4, s19, v6
	v_cmpx_ne_u64_e32 0, v[3:4]
	s_xor_b32 s1, exec_lo, s0
	s_cbranch_execz .LBB0_4
; %bb.3:                                ;   in Loop: Header=BB0_2 Depth=1
	v_cvt_f32_u32_e32 v4, s18
	v_cvt_f32_u32_e32 v7, s19
	s_sub_u32 s0, 0, s18
	s_subb_u32 s20, 0, s19
	v_fmac_f32_e32 v4, 0x4f800000, v7
	v_rcp_f32_e32 v4, v4
	v_mul_f32_e32 v4, 0x5f7ffffc, v4
	v_mul_f32_e32 v7, 0x2f800000, v4
	v_trunc_f32_e32 v7, v7
	v_fmac_f32_e32 v4, 0xcf800000, v7
	v_cvt_u32_f32_e32 v7, v7
	v_cvt_u32_f32_e32 v4, v4
	v_mul_lo_u32 v8, s0, v7
	v_mul_hi_u32 v9, s0, v4
	v_mul_lo_u32 v10, s20, v4
	v_add_nc_u32_e32 v8, v9, v8
	v_mul_lo_u32 v9, s0, v4
	v_add_nc_u32_e32 v8, v8, v10
	v_mul_hi_u32 v10, v4, v9
	v_mul_lo_u32 v11, v4, v8
	v_mul_hi_u32 v12, v4, v8
	v_mul_hi_u32 v13, v7, v9
	v_mul_lo_u32 v9, v7, v9
	v_mul_hi_u32 v14, v7, v8
	v_mul_lo_u32 v8, v7, v8
	v_add_co_u32 v10, vcc_lo, v10, v11
	v_add_co_ci_u32_e32 v11, vcc_lo, 0, v12, vcc_lo
	v_add_co_u32 v9, vcc_lo, v10, v9
	v_add_co_ci_u32_e32 v9, vcc_lo, v11, v13, vcc_lo
	v_add_co_ci_u32_e32 v10, vcc_lo, 0, v14, vcc_lo
	v_add_co_u32 v8, vcc_lo, v9, v8
	v_add_co_ci_u32_e32 v9, vcc_lo, 0, v10, vcc_lo
	v_add_co_u32 v4, vcc_lo, v4, v8
	v_add_co_ci_u32_e32 v7, vcc_lo, v7, v9, vcc_lo
	v_mul_hi_u32 v8, s0, v4
	v_mul_lo_u32 v10, s20, v4
	v_mul_lo_u32 v9, s0, v7
	v_add_nc_u32_e32 v8, v8, v9
	v_mul_lo_u32 v9, s0, v4
	v_add_nc_u32_e32 v8, v8, v10
	v_mul_hi_u32 v10, v4, v9
	v_mul_lo_u32 v11, v4, v8
	v_mul_hi_u32 v12, v4, v8
	v_mul_hi_u32 v13, v7, v9
	v_mul_lo_u32 v9, v7, v9
	v_mul_hi_u32 v14, v7, v8
	v_mul_lo_u32 v8, v7, v8
	v_add_co_u32 v10, vcc_lo, v10, v11
	v_add_co_ci_u32_e32 v11, vcc_lo, 0, v12, vcc_lo
	v_add_co_u32 v9, vcc_lo, v10, v9
	v_add_co_ci_u32_e32 v9, vcc_lo, v11, v13, vcc_lo
	v_add_co_ci_u32_e32 v10, vcc_lo, 0, v14, vcc_lo
	v_add_co_u32 v8, vcc_lo, v9, v8
	v_add_co_ci_u32_e32 v9, vcc_lo, 0, v10, vcc_lo
	v_add_co_u32 v4, vcc_lo, v4, v8
	v_add_co_ci_u32_e32 v11, vcc_lo, v7, v9, vcc_lo
	v_mul_hi_u32 v13, v5, v4
	v_mad_u64_u32 v[9:10], null, v6, v4, 0
	v_mad_u64_u32 v[7:8], null, v5, v11, 0
	;; [unrolled: 1-line block ×3, first 2 shown]
	v_add_co_u32 v4, vcc_lo, v13, v7
	v_add_co_ci_u32_e32 v7, vcc_lo, 0, v8, vcc_lo
	v_add_co_u32 v4, vcc_lo, v4, v9
	v_add_co_ci_u32_e32 v4, vcc_lo, v7, v10, vcc_lo
	v_add_co_ci_u32_e32 v7, vcc_lo, 0, v12, vcc_lo
	v_add_co_u32 v4, vcc_lo, v4, v11
	v_add_co_ci_u32_e32 v9, vcc_lo, 0, v7, vcc_lo
	v_mul_lo_u32 v10, s19, v4
	v_mad_u64_u32 v[7:8], null, s18, v4, 0
	v_mul_lo_u32 v11, s18, v9
	v_sub_co_u32 v7, vcc_lo, v5, v7
	v_add3_u32 v8, v8, v11, v10
	v_sub_nc_u32_e32 v10, v6, v8
	v_subrev_co_ci_u32_e64 v10, s0, s19, v10, vcc_lo
	v_add_co_u32 v11, s0, v4, 2
	v_add_co_ci_u32_e64 v12, s0, 0, v9, s0
	v_sub_co_u32 v13, s0, v7, s18
	v_sub_co_ci_u32_e32 v8, vcc_lo, v6, v8, vcc_lo
	v_subrev_co_ci_u32_e64 v10, s0, 0, v10, s0
	v_cmp_le_u32_e32 vcc_lo, s18, v13
	v_cmp_eq_u32_e64 s0, s19, v8
	v_cndmask_b32_e64 v13, 0, -1, vcc_lo
	v_cmp_le_u32_e32 vcc_lo, s19, v10
	v_cndmask_b32_e64 v14, 0, -1, vcc_lo
	v_cmp_le_u32_e32 vcc_lo, s18, v7
	;; [unrolled: 2-line block ×3, first 2 shown]
	v_cndmask_b32_e64 v15, 0, -1, vcc_lo
	v_cmp_eq_u32_e32 vcc_lo, s19, v10
	v_cndmask_b32_e64 v7, v15, v7, s0
	v_cndmask_b32_e32 v10, v14, v13, vcc_lo
	v_add_co_u32 v13, vcc_lo, v4, 1
	v_add_co_ci_u32_e32 v14, vcc_lo, 0, v9, vcc_lo
	v_cmp_ne_u32_e32 vcc_lo, 0, v10
	v_cndmask_b32_e32 v8, v14, v12, vcc_lo
	v_cndmask_b32_e32 v10, v13, v11, vcc_lo
	v_cmp_ne_u32_e32 vcc_lo, 0, v7
	v_cndmask_b32_e32 v8, v9, v8, vcc_lo
	v_cndmask_b32_e32 v7, v4, v10, vcc_lo
.LBB0_4:                                ;   in Loop: Header=BB0_2 Depth=1
	s_andn2_saveexec_b32 s0, s1
	s_cbranch_execz .LBB0_6
; %bb.5:                                ;   in Loop: Header=BB0_2 Depth=1
	v_cvt_f32_u32_e32 v4, s18
	s_sub_i32 s1, 0, s18
	v_rcp_iflag_f32_e32 v4, v4
	v_mul_f32_e32 v4, 0x4f7ffffe, v4
	v_cvt_u32_f32_e32 v4, v4
	v_mul_lo_u32 v7, s1, v4
	v_mul_hi_u32 v7, v4, v7
	v_add_nc_u32_e32 v4, v4, v7
	v_mul_hi_u32 v4, v5, v4
	v_mul_lo_u32 v7, v4, s18
	v_add_nc_u32_e32 v8, 1, v4
	v_sub_nc_u32_e32 v7, v5, v7
	v_subrev_nc_u32_e32 v9, s18, v7
	v_cmp_le_u32_e32 vcc_lo, s18, v7
	v_cndmask_b32_e32 v7, v7, v9, vcc_lo
	v_cndmask_b32_e32 v4, v4, v8, vcc_lo
	v_cmp_le_u32_e32 vcc_lo, s18, v7
	v_add_nc_u32_e32 v8, 1, v4
	v_cndmask_b32_e32 v7, v4, v8, vcc_lo
	v_mov_b32_e32 v8, v3
.LBB0_6:                                ;   in Loop: Header=BB0_2 Depth=1
	s_or_b32 exec_lo, exec_lo, s0
	s_load_dwordx2 s[0:1], s[6:7], 0x0
	v_mul_lo_u32 v4, v8, s18
	v_mul_lo_u32 v11, v7, s19
	v_mad_u64_u32 v[9:10], null, v7, s18, 0
	s_add_u32 s16, s16, 1
	s_addc_u32 s17, s17, 0
	s_add_u32 s6, s6, 8
	s_addc_u32 s7, s7, 0
	;; [unrolled: 2-line block ×3, first 2 shown]
	v_add3_u32 v4, v10, v11, v4
	v_sub_co_u32 v5, vcc_lo, v5, v9
	v_sub_co_ci_u32_e32 v4, vcc_lo, v6, v4, vcc_lo
	s_waitcnt lgkmcnt(0)
	v_mul_lo_u32 v6, s1, v5
	v_mul_lo_u32 v4, s0, v4
	v_mad_u64_u32 v[1:2], null, s0, v5, v[1:2]
	v_cmp_ge_u64_e64 s0, s[16:17], s[10:11]
	s_and_b32 vcc_lo, exec_lo, s0
	v_add3_u32 v2, v6, v2, v4
	s_cbranch_vccnz .LBB0_9
; %bb.7:                                ;   in Loop: Header=BB0_2 Depth=1
	v_mov_b32_e32 v5, v7
	v_mov_b32_e32 v6, v8
	s_branch .LBB0_2
.LBB0_8:
	v_mov_b32_e32 v8, v6
	v_mov_b32_e32 v7, v5
.LBB0_9:
	s_lshl_b64 s[0:1], s[10:11], 3
	v_and_b32_e32 v16, 63, v0
	s_add_u32 s0, s12, s0
	s_addc_u32 s1, s13, s1
	s_load_dwordx2 s[0:1], s[0:1], 0x0
	s_load_dwordx2 s[4:5], s[4:5], 0x20
	s_waitcnt lgkmcnt(0)
	v_mad_u64_u32 v[2:3], null, s0, v7, v[1:2]
	v_and_b32_e32 v1, 64, v0
	v_mul_lo_u32 v4, s0, v8
	v_mul_lo_u32 v5, s1, v7
	v_cmp_ne_u32_e32 vcc_lo, 0, v1
	v_add3_u32 v3, v5, v3, v4
	v_cndmask_b32_e64 v1, 0, 0x281, vcc_lo
	v_cmp_gt_u64_e32 vcc_lo, s[4:5], v[7:8]
	v_lshlrev_b64 v[18:19], 3, v[2:3]
	v_lshlrev_b32_e32 v5, 3, v1
	s_and_saveexec_b32 s1, vcc_lo
	s_cbranch_execz .LBB0_13
; %bb.10:
	v_lshlrev_b32_e32 v4, 3, v16
	v_add_co_u32 v2, s0, s2, v18
	v_add_co_ci_u32_e64 v3, s0, s3, v19, s0
	v_or_b32_e32 v14, 0x800, v4
	v_add_co_u32 v6, s0, v2, v4
	v_or_b32_e32 v17, 0xa00, v4
	v_add_co_ci_u32_e64 v7, s0, 0, v3, s0
	v_add_co_u32 v14, s0, v2, v14
	v_or_b32_e32 v22, 0xc00, v4
	v_add_co_ci_u32_e64 v15, s0, 0, v3, s0
	;; [unrolled: 3-line block ×5, first 2 shown]
	v_add_co_u32 v26, s0, v2, v26
	v_add_co_ci_u32_e64 v27, s0, 0, v3, s0
	v_add_co_u32 v28, s0, v2, v17
	v_add_co_ci_u32_e64 v29, s0, 0, v3, s0
	s_clause 0x9
	global_load_dwordx2 v[8:9], v[6:7], off
	global_load_dwordx2 v[10:11], v[6:7], off offset:512
	global_load_dwordx2 v[12:13], v[6:7], off offset:1024
	;; [unrolled: 1-line block ×3, first 2 shown]
	global_load_dwordx2 v[14:15], v[14:15], off
	global_load_dwordx2 v[20:21], v[20:21], off
	;; [unrolled: 1-line block ×6, first 2 shown]
	v_add3_u32 v4, 0, v5, v4
	s_mov_b32 s4, exec_lo
	s_waitcnt vmcnt(8)
	ds_write2st64_b64 v4, v[8:9], v[10:11] offset1:1
	s_waitcnt vmcnt(6)
	ds_write2st64_b64 v4, v[12:13], v[6:7] offset0:2 offset1:3
	s_waitcnt vmcnt(4)
	ds_write2st64_b64 v4, v[14:15], v[20:21] offset0:4 offset1:5
	;; [unrolled: 2-line block ×4, first 2 shown]
	v_cmpx_eq_u32_e32 63, v16
	s_cbranch_execz .LBB0_12
; %bb.11:
	v_add_co_u32 v2, s0, 0x1000, v2
	v_add_co_ci_u32_e64 v3, s0, 0, v3, s0
	v_mov_b32_e32 v16, 63
	global_load_dwordx2 v[2:3], v[2:3], off offset:1024
	s_waitcnt vmcnt(0)
	ds_write_b64 v4, v[2:3] offset:4616
.LBB0_12:
	s_or_b32 exec_lo, exec_lo, s4
.LBB0_13:
	s_or_b32 exec_lo, exec_lo, s1
	v_lshl_add_u32 v36, v1, 3, 0
	v_lshlrev_b32_e32 v7, 3, v16
	s_waitcnt lgkmcnt(0)
	s_barrier
	buffer_gl0_inv
	v_cmp_ne_u32_e64 s0, 0, v16
	v_add_nc_u32_e32 v32, v36, v7
	v_sub_nc_u32_e32 v6, v36, v7
	s_add_u32 s4, s8, 0x13c0
	s_addc_u32 s5, s9, 0
	ds_read_b32 v8, v32
	ds_read_b32 v9, v6 offset:5120
                                        ; implicit-def: $vgpr3_vgpr4
	s_waitcnt lgkmcnt(0)
	v_add_f32_e32 v1, v9, v8
	v_sub_f32_e32 v2, v8, v9
	s_and_saveexec_b32 s1, s0
	s_xor_b32 s0, exec_lo, s1
	s_cbranch_execz .LBB0_15
; %bb.14:
	global_load_dwordx2 v[3:4], v7, s[4:5]
	ds_read_b32 v1, v6 offset:5124
	ds_read_b32 v2, v32 offset:4
	v_add_f32_e32 v10, v9, v8
	v_sub_f32_e32 v11, v8, v9
	v_mov_b32_e32 v17, 0
	s_waitcnt lgkmcnt(0)
	v_add_f32_e32 v12, v1, v2
	v_sub_f32_e32 v1, v2, v1
	s_waitcnt vmcnt(0)
	v_fma_f32 v8, -v11, v4, v10
	v_fma_f32 v9, v12, v4, -v1
	v_fma_f32 v13, v11, v4, v10
	v_fma_f32 v2, v12, v4, v1
	v_fmac_f32_e32 v8, v3, v12
	v_fmac_f32_e32 v9, v11, v3
	v_fma_f32 v1, -v3, v12, v13
	v_fmac_f32_e32 v2, v11, v3
	v_mov_b32_e32 v3, v16
	v_mov_b32_e32 v4, v17
	ds_write_b64 v6, v[8:9] offset:5120
.LBB0_15:
	s_andn2_saveexec_b32 s0, s0
	s_cbranch_execz .LBB0_17
; %bb.16:
	ds_read_b64 v[3:4], v36 offset:2560
	s_waitcnt lgkmcnt(0)
	v_add_f32_e32 v8, v3, v3
	v_mul_f32_e32 v9, -2.0, v4
	v_mov_b32_e32 v3, 0
	v_mov_b32_e32 v4, 0
	ds_write_b64 v36, v[8:9] offset:2560
.LBB0_17:
	s_or_b32 exec_lo, exec_lo, s0
	v_lshlrev_b64 v[3:4], 3, v[3:4]
	v_or_b32_e32 v12, 0x800, v7
	v_or_b32_e32 v37, 64, v16
	v_add_co_u32 v3, s0, s4, v3
	v_add_co_ci_u32_e64 v4, s0, s5, v4, s0
	v_cmp_gt_u32_e64 s0, 16, v16
	s_clause 0x3
	global_load_dwordx2 v[8:9], v[3:4], off offset:512
	global_load_dwordx2 v[10:11], v[3:4], off offset:1024
	;; [unrolled: 1-line block ×3, first 2 shown]
	global_load_dwordx2 v[12:13], v12, s[4:5]
	ds_write_b64 v32, v[1:2]
	ds_read_b64 v[1:2], v32 offset:512
	ds_read_b64 v[14:15], v6 offset:4608
	s_waitcnt lgkmcnt(0)
	v_add_f32_e32 v17, v1, v14
	v_add_f32_e32 v20, v15, v2
	v_sub_f32_e32 v21, v1, v14
	v_sub_f32_e32 v1, v2, v15
	s_waitcnt vmcnt(3)
	v_fma_f32 v22, v21, v9, v17
	v_fma_f32 v2, v20, v9, v1
	v_fma_f32 v14, -v21, v9, v17
	v_fma_f32 v15, v20, v9, -v1
	v_fma_f32 v1, -v8, v20, v22
	v_fmac_f32_e32 v2, v21, v8
	v_fmac_f32_e32 v14, v8, v20
	v_fmac_f32_e32 v15, v21, v8
	ds_write_b64 v32, v[1:2] offset:512
	ds_write_b64 v6, v[14:15] offset:4608
	ds_read_b64 v[1:2], v32 offset:1024
	ds_read_b64 v[8:9], v6 offset:4096
	s_waitcnt lgkmcnt(0)
	v_add_f32_e32 v14, v1, v8
	v_add_f32_e32 v15, v9, v2
	v_sub_f32_e32 v17, v1, v8
	v_sub_f32_e32 v1, v2, v9
	s_waitcnt vmcnt(2)
	v_fma_f32 v20, v17, v11, v14
	v_fma_f32 v2, v15, v11, v1
	v_fma_f32 v8, -v17, v11, v14
	v_fma_f32 v9, v15, v11, -v1
	v_fma_f32 v1, -v10, v15, v20
	v_fmac_f32_e32 v2, v17, v10
	v_fmac_f32_e32 v8, v10, v15
	v_fmac_f32_e32 v9, v17, v10
	ds_write_b64 v32, v[1:2] offset:1024
	ds_write_b64 v6, v[8:9] offset:4096
	;; [unrolled: 18-line block ×3, first 2 shown]
	ds_read_b64 v[1:2], v32 offset:2048
	ds_read_b64 v[3:4], v6 offset:3072
	v_add_nc_u32_e32 v14, 0, v7
	v_add_nc_u32_e32 v17, v14, v5
	v_add_nc_u32_e32 v15, 0x1000, v17
	s_waitcnt lgkmcnt(0)
	v_add_f32_e32 v8, v1, v3
	v_add_f32_e32 v9, v4, v2
	v_sub_f32_e32 v3, v1, v3
	v_sub_f32_e32 v1, v2, v4
	s_waitcnt vmcnt(0)
	v_fma_f32 v4, v3, v13, v8
	v_fma_f32 v2, v9, v13, v1
	v_fma_f32 v7, -v3, v13, v8
	v_fma_f32 v8, v9, v13, -v1
	v_fma_f32 v1, -v12, v9, v4
	v_fmac_f32_e32 v2, v3, v12
	v_add_nc_u32_e32 v4, 0x800, v17
	v_fmac_f32_e32 v7, v12, v9
	v_fmac_f32_e32 v8, v3, v12
	ds_write_b64 v32, v[1:2] offset:2048
	ds_write_b64 v6, v[7:8] offset:3072
	s_waitcnt lgkmcnt(0)
	s_barrier
	buffer_gl0_inv
	s_barrier
	buffer_gl0_inv
	ds_read2_b64 v[6:9], v4 offset0:48 offset1:64
	ds_read_b64 v[2:3], v32
	ds_read2_b64 v[10:13], v17 offset0:144 offset1:160
	ds_read2_b64 v[20:23], v4 offset0:208 offset1:224
	;; [unrolled: 1-line block ×6, first 2 shown]
	v_mad_u32_u24 v1, v16, 56, v14
	ds_read_b64 v[14:15], v17 offset:4992
	s_waitcnt lgkmcnt(0)
	s_barrier
	buffer_gl0_inv
	v_add_nc_u32_e32 v35, v1, v5
	v_sub_f32_e32 v8, v2, v8
	v_sub_f32_e32 v9, v3, v9
	;; [unrolled: 1-line block ×16, first 2 shown]
	v_fma_f32 v2, v2, 2.0, -v8
	v_fma_f32 v3, v3, 2.0, -v9
	;; [unrolled: 1-line block ×8, first 2 shown]
	v_sub_f32_e32 v44, v8, v23
	v_add_f32_e32 v45, v9, v22
	v_sub_f32_e32 v22, v30, v34
	v_add_f32_e32 v23, v31, v33
	v_fma_f32 v24, v24, 2.0, -v28
	v_fma_f32 v25, v25, 2.0, -v29
	;; [unrolled: 1-line block ×8, first 2 shown]
	v_sub_f32_e32 v48, v28, v43
	v_add_f32_e32 v49, v29, v42
	v_sub_f32_e32 v42, v20, v15
	v_add_f32_e32 v43, v21, v14
	v_sub_f32_e32 v50, v2, v12
	v_sub_f32_e32 v51, v3, v13
	v_fma_f32 v52, v8, 2.0, -v44
	v_fma_f32 v53, v9, 2.0, -v45
	v_sub_f32_e32 v8, v26, v40
	v_sub_f32_e32 v9, v27, v41
	v_fma_f32 v40, v30, 2.0, -v22
	v_fma_f32 v41, v31, 2.0, -v23
	v_fmamk_f32 v10, v22, 0x3f3504f3, v44
	v_fmamk_f32 v11, v23, 0x3f3504f3, v45
	v_sub_f32_e32 v54, v24, v33
	v_sub_f32_e32 v55, v25, v34
	v_fma_f32 v6, v28, 2.0, -v48
	v_fma_f32 v7, v29, 2.0, -v49
	v_sub_f32_e32 v28, v38, v46
	v_sub_f32_e32 v29, v39, v47
	v_fma_f32 v46, v20, 2.0, -v42
	v_fma_f32 v47, v21, 2.0, -v43
	v_fmamk_f32 v20, v42, 0x3f3504f3, v48
	v_fmamk_f32 v21, v43, 0x3f3504f3, v49
	v_fma_f32 v56, v2, 2.0, -v50
	v_fma_f32 v57, v3, 2.0, -v51
	;; [unrolled: 1-line block ×4, first 2 shown]
	v_fmamk_f32 v12, v40, 0xbf3504f3, v52
	v_fmamk_f32 v13, v41, 0xbf3504f3, v53
	v_sub_f32_e32 v14, v50, v9
	v_add_f32_e32 v15, v51, v8
	v_fmac_f32_e32 v10, 0xbf3504f3, v23
	v_fmac_f32_e32 v11, 0x3f3504f3, v22
	v_fma_f32 v8, v24, 2.0, -v54
	v_fma_f32 v9, v25, 2.0, -v55
	;; [unrolled: 1-line block ×4, first 2 shown]
	v_fmamk_f32 v22, v46, 0xbf3504f3, v6
	v_fmamk_f32 v23, v47, 0xbf3504f3, v7
	v_sub_f32_e32 v2, v54, v29
	v_add_f32_e32 v3, v55, v28
	v_fmac_f32_e32 v20, 0xbf3504f3, v43
	v_fmac_f32_e32 v21, 0x3f3504f3, v42
	v_sub_f32_e32 v30, v56, v26
	v_sub_f32_e32 v31, v57, v27
	v_fmac_f32_e32 v12, 0xbf3504f3, v41
	v_fmac_f32_e32 v13, 0x3f3504f3, v40
	v_fma_f32 v33, v50, 2.0, -v14
	v_fma_f32 v34, v51, 2.0, -v15
	v_fma_f32 v38, v44, 2.0, -v10
	v_fma_f32 v39, v45, 2.0, -v11
	v_sub_f32_e32 v26, v8, v24
	v_sub_f32_e32 v27, v9, v25
	v_fmac_f32_e32 v22, 0xbf3504f3, v47
	v_fmac_f32_e32 v23, 0x3f3504f3, v46
	v_fma_f32 v24, v54, 2.0, -v2
	v_fma_f32 v25, v55, 2.0, -v3
	;; [unrolled: 1-line block ×8, first 2 shown]
	ds_write2_b64 v35, v[33:34], v[38:39] offset0:2 offset1:3
	ds_write2_b64 v35, v[30:31], v[12:13] offset0:4 offset1:5
	ds_write2_b64 v35, v[40:41], v[42:43] offset1:1
	ds_write2_b64 v35, v[14:15], v[10:11] offset0:6 offset1:7
	s_and_saveexec_b32 s1, s0
	s_cbranch_execz .LBB0_19
; %bb.18:
	v_lshlrev_b32_e32 v10, 6, v37
	v_fma_f32 v7, v7, 2.0, -v23
	v_fma_f32 v6, v6, 2.0, -v22
	;; [unrolled: 1-line block ×4, first 2 shown]
	v_add3_u32 v10, 0, v10, v5
	ds_write2_b64 v10, v[8:9], v[6:7] offset1:1
	ds_write2_b64 v10, v[24:25], v[28:29] offset0:2 offset1:3
	ds_write2_b64 v10, v[26:27], v[22:23] offset0:4 offset1:5
	;; [unrolled: 1-line block ×3, first 2 shown]
.LBB0_19:
	s_or_b32 exec_lo, exec_lo, s1
	v_and_b32_e32 v0, 7, v0
	s_waitcnt lgkmcnt(0)
	s_barrier
	buffer_gl0_inv
	v_mul_i32_i24_e32 v30, 0xffffffc8, v16
	v_mul_u32_u24_e32 v6, 9, v0
	v_add_nc_u32_e32 v35, 0x400, v17
	v_add3_u32 v38, v1, v30, v5
	v_lshlrev_b32_e32 v14, 3, v6
	v_lshrrev_b32_e32 v1, 3, v16
	s_clause 0x4
	global_load_dwordx4 v[6:9], v14, s[8:9]
	global_load_dwordx4 v[10:13], v14, s[8:9] offset:16
	global_load_dwordx4 v[39:42], v14, s[8:9] offset:32
	;; [unrolled: 1-line block ×3, first 2 shown]
	global_load_dwordx2 v[14:15], v14, s[8:9] offset:64
	v_mul_u32_u24_e32 v1, 0x50, v1
	ds_read2st64_b64 v[47:50], v38 offset0:1 offset1:2
	ds_read2st64_b64 v[51:54], v38 offset0:3 offset1:4
	;; [unrolled: 1-line block ×3, first 2 shown]
	v_or_b32_e32 v30, v1, v0
	ds_read_b64 v[0:1], v32
	ds_read2st64_b64 v[59:62], v38 offset0:7 offset1:8
	v_lshlrev_b32_e32 v33, 3, v30
	ds_read_b64 v[30:31], v38 offset:4608
	s_waitcnt vmcnt(0) lgkmcnt(0)
	s_barrier
	buffer_gl0_inv
	v_add3_u32 v63, 0, v33, v5
	v_mul_f32_e32 v5, v7, v48
	v_mul_f32_e32 v33, v7, v47
	;; [unrolled: 1-line block ×18, first 2 shown]
	v_fma_f32 v47, v6, v47, -v5
	v_fmac_f32_e32 v33, v6, v48
	v_fma_f32 v5, v8, v49, -v7
	v_fmac_f32_e32 v9, v8, v50
	;; [unrolled: 2-line block ×7, first 2 shown]
	v_fma_f32 v34, v61, v45, -v68
	v_fma_f32 v30, v30, v14, -v69
	v_fmac_f32_e32 v15, v31, v14
	v_fmac_f32_e32 v46, v62, v45
	v_add_f32_e32 v14, v0, v5
	v_add_f32_e32 v31, v7, v10
	v_sub_f32_e32 v43, v5, v7
	v_sub_f32_e32 v45, v34, v10
	v_add_f32_e32 v48, v5, v34
	v_sub_f32_e32 v49, v7, v5
	v_sub_f32_e32 v50, v10, v34
	v_add_f32_e32 v52, v13, v42
	v_add_f32_e32 v58, v47, v6
	;; [unrolled: 1-line block ×8, first 2 shown]
	v_sub_f32_e32 v53, v7, v10
	v_sub_f32_e32 v60, v11, v15
	;; [unrolled: 1-line block ×9, first 2 shown]
	v_add_f32_e32 v7, v14, v7
	v_add_f32_e32 v14, v43, v45
	;; [unrolled: 1-line block ×3, first 2 shown]
	v_fma_f32 v49, -0.5, v52, v1
	v_fma_f32 v31, -0.5, v31, v0
	;; [unrolled: 1-line block ×3, first 2 shown]
	v_add_f32_e32 v8, v58, v8
	v_fma_f32 v48, -0.5, v59, v47
	v_add_f32_e32 v40, v68, v40
	v_fma_f32 v52, -0.5, v69, v33
	v_sub_f32_e32 v39, v9, v46
	v_sub_f32_e32 v41, v13, v42
	;; [unrolled: 1-line block ×3, first 2 shown]
	v_add_f32_e32 v56, v9, v46
	v_sub_f32_e32 v9, v13, v9
	v_add_f32_e32 v13, v51, v13
	v_fmac_f32_e32 v47, -0.5, v65
	v_fmac_f32_e32 v33, -0.5, v73
	v_sub_f32_e32 v55, v46, v42
	v_sub_f32_e32 v64, v30, v12
	v_sub_f32_e32 v67, v12, v30
	v_sub_f32_e32 v72, v15, v44
	v_sub_f32_e32 v74, v44, v15
	v_add_f32_e32 v8, v8, v12
	v_fmamk_f32 v12, v60, 0x3f737871, v48
	v_add_f32_e32 v40, v40, v44
	v_fmamk_f32 v44, v6, 0xbf737871, v52
	v_sub_f32_e32 v57, v42, v46
	v_fmac_f32_e32 v1, -0.5, v56
	v_add_f32_e32 v7, v7, v10
	v_add_f32_e32 v10, v13, v42
	v_fmamk_f32 v13, v61, 0xbf737871, v47
	v_fmac_f32_e32 v47, 0x3f737871, v61
	v_fmamk_f32 v58, v70, 0x3f737871, v33
	v_fmac_f32_e32 v33, 0xbf737871, v70
	v_fmac_f32_e32 v48, 0xbf737871, v60
	;; [unrolled: 1-line block ×3, first 2 shown]
	v_sub_f32_e32 v5, v5, v34
	v_add_f32_e32 v45, v54, v55
	v_add_f32_e32 v50, v62, v64
	;; [unrolled: 1-line block ×3, first 2 shown]
	v_fmac_f32_e32 v12, 0x3f167918, v61
	v_fmac_f32_e32 v44, 0xbf167918, v70
	v_add_f32_e32 v9, v9, v57
	v_add_f32_e32 v51, v66, v67
	;; [unrolled: 1-line block ×3, first 2 shown]
	v_fmamk_f32 v56, v41, 0xbf737871, v0
	v_fmac_f32_e32 v0, 0x3f737871, v41
	v_fmamk_f32 v57, v53, 0x3f737871, v1
	v_fmac_f32_e32 v1, 0xbf737871, v53
	v_fmac_f32_e32 v13, 0x3f167918, v60
	;; [unrolled: 1-line block ×5, first 2 shown]
	v_fmamk_f32 v55, v39, 0x3f737871, v31
	v_fmac_f32_e32 v31, 0xbf737871, v39
	v_fmac_f32_e32 v48, 0xbf167918, v61
	;; [unrolled: 1-line block ×3, first 2 shown]
	v_fmamk_f32 v42, v5, 0xbf737871, v49
	v_add_f32_e32 v7, v7, v34
	v_add_f32_e32 v10, v10, v46
	;; [unrolled: 1-line block ×4, first 2 shown]
	v_fmac_f32_e32 v12, 0x3e9e377a, v50
	v_fmac_f32_e32 v44, 0x3e9e377a, v54
	;; [unrolled: 1-line block ×16, first 2 shown]
	v_add_f32_e32 v5, v7, v8
	v_add_f32_e32 v6, v10, v15
	v_sub_f32_e32 v7, v7, v8
	v_sub_f32_e32 v8, v10, v15
	v_mul_f32_e32 v15, 0x3f167918, v44
	v_mul_f32_e32 v40, 0xbf167918, v12
	v_fmac_f32_e32 v49, 0x3f167918, v53
	v_fmac_f32_e32 v56, 0x3e9e377a, v43
	;; [unrolled: 1-line block ×5, first 2 shown]
	v_mul_f32_e32 v30, 0x3f737871, v58
	v_mul_f32_e32 v9, 0x3e9e377a, v47
	;; [unrolled: 1-line block ×4, first 2 shown]
	v_fmac_f32_e32 v55, 0x3e9e377a, v14
	v_fmac_f32_e32 v31, 0x3e9e377a, v14
	v_mul_f32_e32 v10, 0x3f4f1bbd, v48
	v_mul_f32_e32 v14, 0x3f4f1bbd, v52
	v_fmac_f32_e32 v42, 0x3e9e377a, v45
	v_fmac_f32_e32 v15, 0x3f4f1bbd, v12
	;; [unrolled: 1-line block ×5, first 2 shown]
	v_fma_f32 v45, 0x3f737871, v33, -v9
	v_fmac_f32_e32 v43, 0x3e9e377a, v58
	v_fma_f32 v44, 0xbf737871, v47, -v11
	v_fma_f32 v46, 0x3f167918, v52, -v10
	v_fma_f32 v47, 0xbf167918, v48, -v14
	v_add_f32_e32 v9, v55, v15
	v_add_f32_e32 v10, v42, v40
	;; [unrolled: 1-line block ×8, first 2 shown]
	v_sub_f32_e32 v39, v55, v15
	v_sub_f32_e32 v41, v56, v30
	;; [unrolled: 1-line block ×8, first 2 shown]
	ds_write2_b64 v63, v[5:6], v[9:10] offset1:8
	ds_write2_b64 v63, v[11:12], v[13:14] offset0:16 offset1:24
	ds_write2_b64 v63, v[33:34], v[7:8] offset0:32 offset1:40
	ds_write2_b64 v63, v[39:40], v[41:42] offset0:48 offset1:56
	ds_write2_b64 v63, v[30:31], v[0:1] offset0:64 offset1:72
	s_waitcnt lgkmcnt(0)
	s_barrier
	buffer_gl0_inv
	ds_read2_b64 v[12:15], v17 offset0:80 offset1:160
	ds_read2_b64 v[8:11], v35 offset0:112 offset1:192
	ds_read2_b64 v[4:7], v4 offset0:144 offset1:224
	ds_read_b64 v[32:33], v32
	ds_read_b64 v[34:35], v17 offset:4480
	s_and_saveexec_b32 s1, s0
	s_cbranch_execz .LBB0_21
; %bb.20:
	v_add_nc_u32_e32 v20, 0x800, v17
	v_add_nc_u32_e32 v21, 0xc00, v17
	ds_read2_b64 v[0:3], v17 offset0:144 offset1:224
	ds_read2_b64 v[39:42], v20 offset0:48 offset1:128
	;; [unrolled: 1-line block ×3, first 2 shown]
	ds_read_b64 v[30:31], v38 offset:512
	ds_read_b64 v[20:21], v17 offset:4992
	s_waitcnt lgkmcnt(4)
	v_mov_b32_e32 v25, v3
	v_mov_b32_e32 v24, v2
	s_waitcnt lgkmcnt(3)
	v_mov_b32_e32 v29, v40
	v_mov_b32_e32 v28, v39
	;; [unrolled: 1-line block ×4, first 2 shown]
	s_waitcnt lgkmcnt(2)
	v_mov_b32_e32 v23, v44
	v_mov_b32_e32 v22, v43
	;; [unrolled: 1-line block ×4, first 2 shown]
.LBB0_21:
	s_or_b32 exec_lo, exec_lo, s1
	v_mul_u32_u24_e32 v39, 7, v16
	v_cmp_gt_u32_e64 s1, 0x50, v37
	v_add_nc_u32_e32 v40, 0xc00, v17
	v_lshlrev_b32_e32 v39, 3, v39
	s_clause 0x3
	global_load_dwordx4 v[41:44], v39, s[8:9] offset:576
	global_load_dwordx4 v[45:48], v39, s[8:9] offset:592
	;; [unrolled: 1-line block ×3, first 2 shown]
	global_load_dwordx2 v[53:54], v39, s[8:9] offset:624
	v_add_nc_u32_e32 v39, 0x800, v17
	s_waitcnt vmcnt(0) lgkmcnt(0)
	s_barrier
	buffer_gl0_inv
	v_mul_f32_e32 v55, v42, v13
	v_mul_f32_e32 v42, v42, v12
	;; [unrolled: 1-line block ×14, first 2 shown]
	v_fma_f32 v12, v41, v12, -v55
	v_fmac_f32_e32 v42, v41, v13
	v_fma_f32 v13, v43, v14, -v56
	v_fmac_f32_e32 v44, v43, v15
	;; [unrolled: 2-line block ×7, first 2 shown]
	v_sub_f32_e32 v7, v32, v9
	v_sub_f32_e32 v9, v33, v48
	;; [unrolled: 1-line block ×8, first 2 shown]
	v_fma_f32 v15, v32, 2.0, -v7
	v_fma_f32 v32, v33, 2.0, -v9
	;; [unrolled: 1-line block ×8, first 2 shown]
	v_sub_f32_e32 v41, v7, v10
	v_add_f32_e32 v42, v9, v5
	v_sub_f32_e32 v10, v4, v14
	v_add_f32_e32 v14, v11, v6
	v_sub_f32_e32 v13, v15, v13
	v_sub_f32_e32 v33, v32, v33
	v_fma_f32 v43, v7, 2.0, -v41
	v_fma_f32 v44, v9, 2.0, -v42
	v_sub_f32_e32 v9, v12, v8
	v_sub_f32_e32 v8, v34, v35
	v_fma_f32 v35, v4, 2.0, -v10
	v_fma_f32 v45, v11, 2.0, -v14
	v_fmamk_f32 v4, v10, 0x3f3504f3, v41
	v_fmamk_f32 v5, v14, 0x3f3504f3, v42
	v_fma_f32 v46, v15, 2.0, -v13
	v_fma_f32 v47, v32, 2.0, -v33
	v_fma_f32 v11, v12, 2.0, -v9
	v_fma_f32 v12, v34, 2.0, -v8
	v_fmamk_f32 v6, v35, 0xbf3504f3, v43
	v_fmamk_f32 v7, v45, 0xbf3504f3, v44
	v_sub_f32_e32 v8, v13, v8
	v_add_f32_e32 v9, v33, v9
	v_fmac_f32_e32 v4, 0xbf3504f3, v14
	v_fmac_f32_e32 v5, 0x3f3504f3, v10
	v_sub_f32_e32 v10, v46, v11
	v_sub_f32_e32 v11, v47, v12
	v_fmac_f32_e32 v6, 0xbf3504f3, v45
	v_fmac_f32_e32 v7, 0x3f3504f3, v35
	v_fma_f32 v12, v13, 2.0, -v8
	v_fma_f32 v13, v33, 2.0, -v9
	;; [unrolled: 1-line block ×8, first 2 shown]
	ds_write2_b64 v17, v[12:13], v[14:15] offset0:160 offset1:240
	ds_write2_b64 v39, v[10:11], v[6:7] offset0:64 offset1:144
	ds_write2_b64 v17, v[32:33], v[34:35] offset1:80
	ds_write2_b64 v40, v[8:9], v[4:5] offset0:96 offset1:176
	s_and_saveexec_b32 s4, s0
	s_cbranch_execz .LBB0_23
; %bb.22:
	v_add_nc_u32_e32 v4, -16, v16
	v_mov_b32_e32 v5, 0
	v_cndmask_b32_e64 v4, v4, v37, s1
	v_mul_i32_i24_e32 v4, 7, v4
	v_lshlrev_b64 v[4:5], 3, v[4:5]
	v_add_co_u32 v32, s0, s8, v4
	v_add_co_ci_u32_e64 v33, s0, s9, v5, s0
	s_clause 0x3
	global_load_dwordx4 v[4:7], v[32:33], off offset:576
	global_load_dwordx4 v[8:11], v[32:33], off offset:608
	global_load_dwordx4 v[12:15], v[32:33], off offset:592
	global_load_dwordx2 v[32:33], v[32:33], off offset:624
	s_waitcnt vmcnt(3)
	v_mul_f32_e32 v34, v25, v7
	s_waitcnt vmcnt(2)
	v_mul_f32_e32 v35, v3, v11
	;; [unrolled: 2-line block ×3, first 2 shown]
	v_mul_f32_e32 v41, v1, v5
	v_mul_f32_e32 v42, v23, v9
	;; [unrolled: 1-line block ×3, first 2 shown]
	s_waitcnt vmcnt(0)
	v_mul_f32_e32 v44, v20, v33
	v_mul_f32_e32 v13, v29, v13
	;; [unrolled: 1-line block ×8, first 2 shown]
	v_fma_f32 v24, v24, v6, -v34
	v_fma_f32 v2, v2, v10, -v35
	v_fmac_f32_e32 v37, v27, v14
	v_fma_f32 v0, v0, v4, -v41
	v_fma_f32 v22, v22, v8, -v42
	v_fmac_f32_e32 v43, v29, v12
	v_fmac_f32_e32 v44, v21, v32
	v_fma_f32 v12, v28, v12, -v13
	v_fma_f32 v13, v20, v32, -v33
	v_fmac_f32_e32 v5, v1, v4
	v_fmac_f32_e32 v9, v23, v8
	v_fma_f32 v1, v26, v14, -v15
	v_fmac_f32_e32 v7, v25, v6
	v_fmac_f32_e32 v11, v3, v10
	v_sub_f32_e32 v2, v24, v2
	v_sub_f32_e32 v3, v31, v37
	;; [unrolled: 1-line block ×8, first 2 shown]
	v_add_f32_e32 v11, v3, v2
	v_sub_f32_e32 v13, v4, v6
	v_add_f32_e32 v14, v9, v8
	v_fma_f32 v15, v31, 2.0, -v3
	v_sub_f32_e32 v20, v10, v1
	v_fma_f32 v7, v7, 2.0, -v1
	v_fma_f32 v21, v0, 2.0, -v4
	;; [unrolled: 1-line block ×7, first 2 shown]
	v_fmamk_f32 v1, v14, 0x3f3504f3, v11
	v_fmamk_f32 v0, v13, 0x3f3504f3, v20
	v_sub_f32_e32 v6, v15, v7
	v_sub_f32_e32 v7, v21, v8
	;; [unrolled: 1-line block ×4, first 2 shown]
	v_fma_f32 v24, v3, 2.0, -v11
	v_fma_f32 v25, v4, 2.0, -v13
	;; [unrolled: 1-line block ×4, first 2 shown]
	v_fmac_f32_e32 v1, 0x3f3504f3, v13
	v_fmac_f32_e32 v0, 0xbf3504f3, v14
	v_fma_f32 v14, v15, 2.0, -v6
	v_fma_f32 v10, v22, 2.0, -v23
	;; [unrolled: 1-line block ×4, first 2 shown]
	v_fmamk_f32 v5, v26, 0xbf3504f3, v24
	v_fmamk_f32 v4, v25, 0xbf3504f3, v27
	v_add_f32_e32 v3, v6, v7
	v_fma_f32 v7, v11, 2.0, -v1
	v_sub_f32_e32 v11, v14, v10
	v_sub_f32_e32 v10, v12, v13
	;; [unrolled: 1-line block ×3, first 2 shown]
	v_fmac_f32_e32 v5, 0x3f3504f3, v25
	v_fmac_f32_e32 v4, 0xbf3504f3, v26
	v_fma_f32 v15, v14, 2.0, -v11
	v_fma_f32 v14, v12, 2.0, -v10
	;; [unrolled: 1-line block ×7, first 2 shown]
	ds_write_b64 v38, v[14:15] offset:512
	ds_write2_b64 v17, v[12:13], v[8:9] offset0:144 offset1:224
	ds_write2_b64 v39, v[6:7], v[10:11] offset0:48 offset1:128
	;; [unrolled: 1-line block ×3, first 2 shown]
	ds_write_b64 v17, v[0:1] offset:4992
.LBB0_23:
	s_or_b32 exec_lo, exec_lo, s4
	s_waitcnt lgkmcnt(0)
	s_barrier
	buffer_gl0_inv
	s_and_saveexec_b32 s0, vcc_lo
	s_cbranch_execz .LBB0_25
; %bb.24:
	v_lshl_add_u32 v20, v16, 3, v36
	v_mov_b32_e32 v17, 0
	v_add_nc_u32_e32 v4, 64, v16
	v_add_co_u32 v21, vcc_lo, s2, v18
	ds_read2st64_b64 v[0:3], v20 offset1:1
	v_mov_b32_e32 v5, v17
	v_lshlrev_b64 v[6:7], 3, v[16:17]
	v_add_co_ci_u32_e32 v22, vcc_lo, s3, v19, vcc_lo
	v_add_nc_u32_e32 v8, 0x80, v16
	v_lshlrev_b64 v[4:5], 3, v[4:5]
	v_mov_b32_e32 v9, v17
	v_add_co_u32 v12, vcc_lo, v21, v6
	v_add_co_ci_u32_e32 v13, vcc_lo, v22, v7, vcc_lo
	v_add_co_u32 v14, vcc_lo, v21, v4
	v_add_co_ci_u32_e32 v15, vcc_lo, v22, v5, vcc_lo
	ds_read2st64_b64 v[4:7], v20 offset0:2 offset1:3
	v_add_nc_u32_e32 v10, 0xc0, v16
	v_mov_b32_e32 v11, v17
	v_lshlrev_b64 v[8:9], 3, v[8:9]
	s_waitcnt lgkmcnt(1)
	global_store_dwordx2 v[12:13], v[0:1], off
	global_store_dwordx2 v[14:15], v[2:3], off
	ds_read2st64_b64 v[0:3], v20 offset0:4 offset1:5
	v_add_nc_u32_e32 v12, 0x100, v16
	v_mov_b32_e32 v13, v17
	v_lshlrev_b64 v[10:11], 3, v[10:11]
	v_add_co_u32 v8, vcc_lo, v21, v8
	v_add_co_ci_u32_e32 v9, vcc_lo, v22, v9, vcc_lo
	v_lshlrev_b64 v[12:13], 3, v[12:13]
	v_add_co_u32 v10, vcc_lo, v21, v10
	v_add_co_ci_u32_e32 v11, vcc_lo, v22, v11, vcc_lo
	v_add_nc_u32_e32 v14, 0x140, v16
	v_add_co_u32 v12, vcc_lo, v21, v12
	v_add_co_ci_u32_e32 v13, vcc_lo, v22, v13, vcc_lo
	v_mov_b32_e32 v15, v17
	s_waitcnt lgkmcnt(1)
	global_store_dwordx2 v[8:9], v[4:5], off
	global_store_dwordx2 v[10:11], v[6:7], off
	v_add_nc_u32_e32 v8, 0x180, v16
	v_mov_b32_e32 v9, v17
	v_add_nc_u32_e32 v10, 0x1c0, v16
	v_mov_b32_e32 v11, v17
	s_waitcnt lgkmcnt(0)
	global_store_dwordx2 v[12:13], v[0:1], off
	v_lshlrev_b64 v[0:1], 3, v[14:15]
	ds_read2st64_b64 v[4:7], v20 offset0:6 offset1:7
	v_lshlrev_b64 v[12:13], 3, v[8:9]
	v_lshlrev_b64 v[14:15], 3, v[10:11]
	ds_read2st64_b64 v[8:11], v20 offset0:8 offset1:9
	v_add_nc_u32_e32 v18, 0x200, v16
	v_mov_b32_e32 v19, v17
	v_add_co_u32 v0, vcc_lo, v21, v0
	v_add_nc_u32_e32 v16, 0x240, v16
	v_add_co_ci_u32_e32 v1, vcc_lo, v22, v1, vcc_lo
	v_add_co_u32 v12, vcc_lo, v21, v12
	v_lshlrev_b64 v[18:19], 3, v[18:19]
	v_add_co_ci_u32_e32 v13, vcc_lo, v22, v13, vcc_lo
	v_add_co_u32 v14, vcc_lo, v21, v14
	v_lshlrev_b64 v[16:17], 3, v[16:17]
	v_add_co_ci_u32_e32 v15, vcc_lo, v22, v15, vcc_lo
	v_add_co_u32 v18, vcc_lo, v21, v18
	v_add_co_ci_u32_e32 v19, vcc_lo, v22, v19, vcc_lo
	v_add_co_u32 v16, vcc_lo, v21, v16
	v_add_co_ci_u32_e32 v17, vcc_lo, v22, v17, vcc_lo
	global_store_dwordx2 v[0:1], v[2:3], off
	s_waitcnt lgkmcnt(1)
	global_store_dwordx2 v[12:13], v[4:5], off
	global_store_dwordx2 v[14:15], v[6:7], off
	s_waitcnt lgkmcnt(0)
	global_store_dwordx2 v[18:19], v[8:9], off
	global_store_dwordx2 v[16:17], v[10:11], off
.LBB0_25:
	s_endpgm
	.section	.rodata,"a",@progbits
	.p2align	6, 0x0
	.amdhsa_kernel fft_rtc_fwd_len640_factors_8_10_8_wgs_128_tpt_64_halfLds_sp_ip_CI_unitstride_sbrr_C2R_dirReg
		.amdhsa_group_segment_fixed_size 0
		.amdhsa_private_segment_fixed_size 0
		.amdhsa_kernarg_size 88
		.amdhsa_user_sgpr_count 6
		.amdhsa_user_sgpr_private_segment_buffer 1
		.amdhsa_user_sgpr_dispatch_ptr 0
		.amdhsa_user_sgpr_queue_ptr 0
		.amdhsa_user_sgpr_kernarg_segment_ptr 1
		.amdhsa_user_sgpr_dispatch_id 0
		.amdhsa_user_sgpr_flat_scratch_init 0
		.amdhsa_user_sgpr_private_segment_size 0
		.amdhsa_wavefront_size32 1
		.amdhsa_uses_dynamic_stack 0
		.amdhsa_system_sgpr_private_segment_wavefront_offset 0
		.amdhsa_system_sgpr_workgroup_id_x 1
		.amdhsa_system_sgpr_workgroup_id_y 0
		.amdhsa_system_sgpr_workgroup_id_z 0
		.amdhsa_system_sgpr_workgroup_info 0
		.amdhsa_system_vgpr_workitem_id 0
		.amdhsa_next_free_vgpr 75
		.amdhsa_next_free_sgpr 21
		.amdhsa_reserve_vcc 1
		.amdhsa_reserve_flat_scratch 0
		.amdhsa_float_round_mode_32 0
		.amdhsa_float_round_mode_16_64 0
		.amdhsa_float_denorm_mode_32 3
		.amdhsa_float_denorm_mode_16_64 3
		.amdhsa_dx10_clamp 1
		.amdhsa_ieee_mode 1
		.amdhsa_fp16_overflow 0
		.amdhsa_workgroup_processor_mode 1
		.amdhsa_memory_ordered 1
		.amdhsa_forward_progress 0
		.amdhsa_shared_vgpr_count 0
		.amdhsa_exception_fp_ieee_invalid_op 0
		.amdhsa_exception_fp_denorm_src 0
		.amdhsa_exception_fp_ieee_div_zero 0
		.amdhsa_exception_fp_ieee_overflow 0
		.amdhsa_exception_fp_ieee_underflow 0
		.amdhsa_exception_fp_ieee_inexact 0
		.amdhsa_exception_int_div_zero 0
	.end_amdhsa_kernel
	.text
.Lfunc_end0:
	.size	fft_rtc_fwd_len640_factors_8_10_8_wgs_128_tpt_64_halfLds_sp_ip_CI_unitstride_sbrr_C2R_dirReg, .Lfunc_end0-fft_rtc_fwd_len640_factors_8_10_8_wgs_128_tpt_64_halfLds_sp_ip_CI_unitstride_sbrr_C2R_dirReg
                                        ; -- End function
	.section	.AMDGPU.csdata,"",@progbits
; Kernel info:
; codeLenInByte = 6420
; NumSgprs: 23
; NumVgprs: 75
; ScratchSize: 0
; MemoryBound: 0
; FloatMode: 240
; IeeeMode: 1
; LDSByteSize: 0 bytes/workgroup (compile time only)
; SGPRBlocks: 2
; VGPRBlocks: 9
; NumSGPRsForWavesPerEU: 23
; NumVGPRsForWavesPerEU: 75
; Occupancy: 12
; WaveLimiterHint : 1
; COMPUTE_PGM_RSRC2:SCRATCH_EN: 0
; COMPUTE_PGM_RSRC2:USER_SGPR: 6
; COMPUTE_PGM_RSRC2:TRAP_HANDLER: 0
; COMPUTE_PGM_RSRC2:TGID_X_EN: 1
; COMPUTE_PGM_RSRC2:TGID_Y_EN: 0
; COMPUTE_PGM_RSRC2:TGID_Z_EN: 0
; COMPUTE_PGM_RSRC2:TIDIG_COMP_CNT: 0
	.text
	.p2alignl 6, 3214868480
	.fill 48, 4, 3214868480
	.type	__hip_cuid_e9d7623364f8d7a2,@object ; @__hip_cuid_e9d7623364f8d7a2
	.section	.bss,"aw",@nobits
	.globl	__hip_cuid_e9d7623364f8d7a2
__hip_cuid_e9d7623364f8d7a2:
	.byte	0                               ; 0x0
	.size	__hip_cuid_e9d7623364f8d7a2, 1

	.ident	"AMD clang version 19.0.0git (https://github.com/RadeonOpenCompute/llvm-project roc-6.4.0 25133 c7fe45cf4b819c5991fe208aaa96edf142730f1d)"
	.section	".note.GNU-stack","",@progbits
	.addrsig
	.addrsig_sym __hip_cuid_e9d7623364f8d7a2
	.amdgpu_metadata
---
amdhsa.kernels:
  - .args:
      - .actual_access:  read_only
        .address_space:  global
        .offset:         0
        .size:           8
        .value_kind:     global_buffer
      - .offset:         8
        .size:           8
        .value_kind:     by_value
      - .actual_access:  read_only
        .address_space:  global
        .offset:         16
        .size:           8
        .value_kind:     global_buffer
      - .actual_access:  read_only
        .address_space:  global
        .offset:         24
        .size:           8
        .value_kind:     global_buffer
      - .offset:         32
        .size:           8
        .value_kind:     by_value
      - .actual_access:  read_only
        .address_space:  global
        .offset:         40
        .size:           8
        .value_kind:     global_buffer
      - .actual_access:  read_only
        .address_space:  global
        .offset:         48
        .size:           8
        .value_kind:     global_buffer
      - .offset:         56
        .size:           4
        .value_kind:     by_value
      - .actual_access:  read_only
        .address_space:  global
        .offset:         64
        .size:           8
        .value_kind:     global_buffer
      - .actual_access:  read_only
        .address_space:  global
        .offset:         72
        .size:           8
        .value_kind:     global_buffer
      - .address_space:  global
        .offset:         80
        .size:           8
        .value_kind:     global_buffer
    .group_segment_fixed_size: 0
    .kernarg_segment_align: 8
    .kernarg_segment_size: 88
    .language:       OpenCL C
    .language_version:
      - 2
      - 0
    .max_flat_workgroup_size: 128
    .name:           fft_rtc_fwd_len640_factors_8_10_8_wgs_128_tpt_64_halfLds_sp_ip_CI_unitstride_sbrr_C2R_dirReg
    .private_segment_fixed_size: 0
    .sgpr_count:     23
    .sgpr_spill_count: 0
    .symbol:         fft_rtc_fwd_len640_factors_8_10_8_wgs_128_tpt_64_halfLds_sp_ip_CI_unitstride_sbrr_C2R_dirReg.kd
    .uniform_work_group_size: 1
    .uses_dynamic_stack: false
    .vgpr_count:     75
    .vgpr_spill_count: 0
    .wavefront_size: 32
    .workgroup_processor_mode: 1
amdhsa.target:   amdgcn-amd-amdhsa--gfx1030
amdhsa.version:
  - 1
  - 2
...

	.end_amdgpu_metadata
